;; amdgpu-corpus repo=ROCm/rocFFT kind=compiled arch=gfx906 opt=O3
	.text
	.amdgcn_target "amdgcn-amd-amdhsa--gfx906"
	.amdhsa_code_object_version 6
	.protected	bluestein_single_fwd_len245_dim1_dp_op_CI_CI ; -- Begin function bluestein_single_fwd_len245_dim1_dp_op_CI_CI
	.globl	bluestein_single_fwd_len245_dim1_dp_op_CI_CI
	.p2align	8
	.type	bluestein_single_fwd_len245_dim1_dp_op_CI_CI,@function
bluestein_single_fwd_len245_dim1_dp_op_CI_CI: ; @bluestein_single_fwd_len245_dim1_dp_op_CI_CI
; %bb.0:
	v_mul_u32_u24_e32 v1, 0x751, v0
	s_load_dwordx4 s[16:19], s[4:5], 0x28
	v_lshrrev_b32_e32 v1, 16, v1
	v_mad_u64_u32 v[124:125], s[0:1], s6, 7, v[1:2]
	v_mov_b32_e32 v125, 0
	s_waitcnt lgkmcnt(0)
	v_cmp_gt_u64_e32 vcc, s[16:17], v[124:125]
	s_and_saveexec_b64 s[0:1], vcc
	s_cbranch_execz .LBB0_10
; %bb.1:
	s_load_dwordx4 s[0:3], s[4:5], 0x18
	s_load_dwordx4 s[8:11], s[4:5], 0x0
	v_mul_lo_u16_e32 v1, 35, v1
	v_sub_u16_e32 v125, v0, v1
	v_lshlrev_b32_e32 v110, 4, v125
	s_waitcnt lgkmcnt(0)
	s_load_dwordx4 s[12:15], s[0:1], 0x0
	s_mov_b32 s6, 0x37e14327
	s_mov_b32 s7, 0x3fe948f6
	s_load_dwordx2 s[4:5], s[4:5], 0x38
	v_mov_b32_e32 v88, s9
	s_waitcnt lgkmcnt(0)
	v_mad_u64_u32 v[0:1], s[0:1], s14, v124, 0
	v_mad_u64_u32 v[2:3], s[0:1], s12, v125, 0
                                        ; implicit-def: $vgpr92_vgpr93
                                        ; implicit-def: $vgpr96_vgpr97
	v_mad_u64_u32 v[4:5], s[0:1], s15, v124, v[1:2]
	s_mov_b32 s14, 0xaaaaaaaa
	s_mov_b32 s15, 0xbff2aaaa
	v_mad_u64_u32 v[5:6], s[0:1], s13, v125, v[3:4]
	v_mov_b32_e32 v1, v4
	v_lshlrev_b64 v[0:1], 4, v[0:1]
	v_mov_b32_e32 v6, s19
	v_mov_b32_e32 v3, v5
	v_add_co_u32_e32 v4, vcc, s18, v0
	v_addc_co_u32_e32 v5, vcc, v6, v1, vcc
	v_lshlrev_b64 v[0:1], 4, v[2:3]
	s_mul_i32 s0, s13, 0x230
	v_add_co_u32_e32 v0, vcc, v4, v0
	s_mul_hi_u32 s1, s12, 0x230
	v_addc_co_u32_e32 v1, vcc, v5, v1, vcc
	s_add_i32 s0, s1, s0
	s_mul_i32 s1, s12, 0x230
	global_load_dwordx4 v[28:31], v[0:1], off
	v_mov_b32_e32 v2, s0
	v_add_co_u32_e32 v0, vcc, s1, v0
	v_addc_co_u32_e32 v1, vcc, v1, v2, vcc
	v_mov_b32_e32 v3, s0
	v_add_co_u32_e32 v2, vcc, s1, v0
	v_addc_co_u32_e32 v3, vcc, v1, v3, vcc
	global_load_dwordx4 v[24:27], v110, s[8:9]
	global_load_dwordx4 v[12:15], v110, s[8:9] offset:560
	global_load_dwordx4 v[32:35], v[0:1], off
	global_load_dwordx4 v[36:39], v[2:3], off
	v_mov_b32_e32 v1, s0
	v_add_co_u32_e32 v0, vcc, s1, v2
	v_addc_co_u32_e32 v1, vcc, v3, v1, vcc
	v_mov_b32_e32 v3, s0
	v_add_co_u32_e32 v2, vcc, s1, v0
	v_addc_co_u32_e32 v3, vcc, v1, v3, vcc
	global_load_dwordx4 v[16:19], v110, s[8:9] offset:1120
	global_load_dwordx4 v[4:7], v110, s[8:9] offset:1680
	global_load_dwordx4 v[40:43], v[0:1], off
	global_load_dwordx4 v[44:47], v[2:3], off
	v_mov_b32_e32 v0, s0
	v_add_co_u32_e32 v8, vcc, s1, v2
	v_addc_co_u32_e32 v9, vcc, v3, v0, vcc
	global_load_dwordx4 v[48:51], v[8:9], off
	global_load_dwordx4 v[20:23], v110, s[8:9] offset:2240
	global_load_dwordx4 v[0:3], v110, s[8:9] offset:2800
	v_mov_b32_e32 v10, s0
	v_add_co_u32_e32 v56, vcc, s1, v8
	v_addc_co_u32_e32 v57, vcc, v9, v10, vcc
	global_load_dwordx4 v[8:11], v110, s[8:9] offset:3360
	global_load_dwordx4 v[52:55], v[56:57], off
	s_mov_b32 s0, 0x24924925
	v_mul_hi_u32 v56, v124, s0
	s_load_dwordx4 s[0:3], s[2:3], 0x0
	s_mov_b32 s12, 0xe976ee23
	s_mov_b32 s13, 0xbfe11646
	v_sub_u32_e32 v57, v124, v56
	v_lshrrev_b32_e32 v57, 1, v57
	v_add_u32_e32 v56, v57, v56
	v_lshrrev_b32_e32 v56, 2, v56
	v_mul_lo_u32 v56, v56, 7
	v_add_co_u32_e32 v100, vcc, s8, v110
	v_addc_co_u32_e32 v101, vcc, 0, v88, vcc
	v_sub_u32_e32 v56, v124, v56
	v_mul_u32_u24_e32 v56, 0xf5, v56
	v_lshlrev_b32_e32 v127, 4, v56
	v_add_u32_e32 v126, v110, v127
	v_cmp_gt_u16_e32 vcc, 14, v125
                                        ; implicit-def: $vgpr88_vgpr89
	s_waitcnt vmcnt(12)
	v_mul_f64 v[56:57], v[30:31], v[26:27]
	v_mul_f64 v[58:59], v[28:29], v[26:27]
	s_waitcnt vmcnt(10)
	v_mul_f64 v[60:61], v[34:35], v[14:15]
	v_mul_f64 v[62:63], v[32:33], v[14:15]
	v_fma_f64 v[28:29], v[28:29], v[24:25], v[56:57]
	v_fma_f64 v[30:31], v[30:31], v[24:25], -v[58:59]
	v_fma_f64 v[32:33], v[32:33], v[12:13], v[60:61]
	v_fma_f64 v[34:35], v[34:35], v[12:13], -v[62:63]
	s_waitcnt vmcnt(8)
	v_mul_f64 v[64:65], v[38:39], v[18:19]
	v_mul_f64 v[66:67], v[36:37], v[18:19]
	s_waitcnt vmcnt(6)
	v_mul_f64 v[68:69], v[42:43], v[6:7]
	v_mul_f64 v[70:71], v[40:41], v[6:7]
	;; [unrolled: 3-line block ×4, first 2 shown]
	v_fma_f64 v[36:37], v[36:37], v[16:17], v[64:65]
	v_fma_f64 v[38:39], v[38:39], v[16:17], -v[66:67]
	v_fma_f64 v[40:41], v[40:41], v[4:5], v[68:69]
	s_waitcnt vmcnt(0)
	v_mul_f64 v[80:81], v[54:55], v[10:11]
	v_mul_f64 v[82:83], v[52:53], v[10:11]
	v_fma_f64 v[42:43], v[42:43], v[4:5], -v[70:71]
	v_fma_f64 v[44:45], v[44:45], v[20:21], v[72:73]
	v_fma_f64 v[46:47], v[46:47], v[20:21], -v[74:75]
	v_fma_f64 v[48:49], v[48:49], v[0:1], v[76:77]
	;; [unrolled: 2-line block ×3, first 2 shown]
	v_fma_f64 v[54:55], v[54:55], v[8:9], -v[82:83]
	ds_write_b128 v126, v[28:31]
	ds_write_b128 v126, v[32:35] offset:560
	ds_write_b128 v126, v[36:39] offset:1120
	;; [unrolled: 1-line block ×6, first 2 shown]
	s_waitcnt lgkmcnt(0)
	s_barrier
	ds_read_b128 v[28:31], v126
	ds_read_b128 v[32:35], v126 offset:560
	ds_read_b128 v[36:39], v126 offset:3360
	ds_read_b128 v[40:43], v126 offset:1120
	ds_read_b128 v[44:47], v126 offset:1680
	ds_read_b128 v[48:51], v126 offset:2240
	ds_read_b128 v[52:55], v126 offset:2800
	s_waitcnt lgkmcnt(4)
	v_add_f64 v[56:57], v[32:33], v[36:37]
	v_add_f64 v[58:59], v[34:35], v[38:39]
	v_add_f64 v[32:33], v[32:33], -v[36:37]
	v_add_f64 v[34:35], v[34:35], -v[38:39]
	s_waitcnt lgkmcnt(0)
	v_add_f64 v[36:37], v[40:41], v[52:53]
	v_add_f64 v[38:39], v[42:43], v[54:55]
	v_add_f64 v[40:41], v[40:41], -v[52:53]
	v_add_f64 v[42:43], v[42:43], -v[54:55]
	v_add_f64 v[52:53], v[44:45], v[48:49]
	v_add_f64 v[54:55], v[46:47], v[50:51]
	v_add_f64 v[44:45], v[48:49], -v[44:45]
	v_add_f64 v[46:47], v[50:51], -v[46:47]
	;; [unrolled: 4-line block ×3, first 2 shown]
	v_add_f64 v[56:57], v[56:57], -v[52:53]
	v_add_f64 v[58:59], v[58:59], -v[54:55]
	;; [unrolled: 1-line block ×4, first 2 shown]
	v_add_f64 v[64:65], v[44:45], v[40:41]
	v_add_f64 v[66:67], v[46:47], v[42:43]
	v_add_f64 v[68:69], v[44:45], -v[40:41]
	v_add_f64 v[70:71], v[46:47], -v[42:43]
	v_add_f64 v[48:49], v[52:53], v[48:49]
	v_add_f64 v[50:51], v[54:55], v[50:51]
	v_add_f64 v[40:41], v[40:41], -v[32:33]
	v_add_f64 v[42:43], v[42:43], -v[34:35]
	v_mul_f64 v[52:53], v[56:57], s[6:7]
	v_mul_f64 v[54:55], v[58:59], s[6:7]
	s_mov_b32 s6, 0x36b3c0b5
	s_mov_b32 s7, 0x3fac98ee
	v_mul_f64 v[56:57], v[36:37], s[6:7]
	v_mul_f64 v[58:59], v[38:39], s[6:7]
	v_add_f64 v[44:45], v[32:33], -v[44:45]
	v_add_f64 v[46:47], v[34:35], -v[46:47]
	v_add_f64 v[32:33], v[64:65], v[32:33]
	v_add_f64 v[34:35], v[66:67], v[34:35]
	v_mul_f64 v[64:65], v[68:69], s[12:13]
	v_mul_f64 v[66:67], v[70:71], s[12:13]
	s_mov_b32 s12, 0x429ad128
	v_add_f64 v[28:29], v[28:29], v[48:49]
	v_add_f64 v[30:31], v[30:31], v[50:51]
	s_mov_b32 s13, 0x3febfeb5
	v_mul_f64 v[68:69], v[40:41], s[12:13]
	v_mul_f64 v[70:71], v[42:43], s[12:13]
	v_fma_f64 v[36:37], v[36:37], s[6:7], v[52:53]
	v_fma_f64 v[38:39], v[38:39], s[6:7], v[54:55]
	s_mov_b32 s7, 0x3fe77f67
	s_mov_b32 s6, 0x5476071b
	v_fma_f64 v[56:57], v[60:61], s[6:7], -v[56:57]
	v_fma_f64 v[58:59], v[62:63], s[6:7], -v[58:59]
	s_mov_b32 s7, 0xbfe77f67
	v_fma_f64 v[52:53], v[60:61], s[6:7], -v[52:53]
	v_fma_f64 v[54:55], v[62:63], s[6:7], -v[54:55]
	s_mov_b32 s7, 0x3fd5d0dc
	s_mov_b32 s6, 0xb247c609
	v_fma_f64 v[48:49], v[48:49], s[14:15], v[28:29]
	v_fma_f64 v[50:51], v[50:51], s[14:15], v[30:31]
	v_fma_f64 v[60:61], v[44:45], s[6:7], v[64:65]
	v_fma_f64 v[62:63], v[46:47], s[6:7], v[66:67]
	s_mov_b32 s7, 0xbfd5d0dc
	v_fma_f64 v[44:45], v[44:45], s[6:7], -v[68:69]
	v_fma_f64 v[46:47], v[46:47], s[6:7], -v[70:71]
	;; [unrolled: 1-line block ×4, first 2 shown]
	s_mov_b32 s6, 0x37c3f68c
	s_mov_b32 s7, 0x3fdc38aa
	v_add_f64 v[64:65], v[36:37], v[48:49]
	v_add_f64 v[66:67], v[38:39], v[50:51]
	;; [unrolled: 1-line block ×6, first 2 shown]
	v_fma_f64 v[52:53], v[34:35], s[6:7], v[62:63]
	v_fma_f64 v[54:55], v[32:33], s[6:7], v[60:61]
	;; [unrolled: 1-line block ×6, first 2 shown]
	s_barrier
	v_add_f64 v[32:33], v[64:65], v[52:53]
	v_add_f64 v[34:35], v[66:67], -v[54:55]
	v_add_f64 v[36:37], v[48:49], v[60:61]
	v_add_f64 v[38:39], v[50:51], -v[62:63]
	v_add_f64 v[40:41], v[56:57], -v[44:45]
	v_add_f64 v[42:43], v[46:47], v[58:59]
	v_add_f64 v[44:45], v[56:57], v[44:45]
	v_add_f64 v[46:47], v[58:59], -v[46:47]
	v_add_f64 v[60:61], v[48:49], -v[60:61]
	v_add_f64 v[62:63], v[62:63], v[50:51]
	v_add_f64 v[68:69], v[64:65], -v[52:53]
	v_add_f64 v[70:71], v[54:55], v[66:67]
	v_mul_lo_u16_e32 v48, 7, v125
	v_lshl_add_u32 v111, v48, 4, v127
	ds_write_b128 v111, v[28:31]
	ds_write_b128 v111, v[32:35] offset:16
	ds_write_b128 v111, v[36:39] offset:32
	;; [unrolled: 1-line block ×6, first 2 shown]
	s_waitcnt lgkmcnt(0)
	s_barrier
	ds_read_b128 v[64:67], v126
	ds_read_b128 v[84:87], v126 offset:784
	ds_read_b128 v[80:83], v126 offset:1568
	;; [unrolled: 1-line block ×4, first 2 shown]
	s_and_saveexec_b64 s[6:7], vcc
	s_cbranch_execz .LBB0_3
; %bb.2:
	ds_read_b128 v[60:63], v126 offset:560
	ds_read_b128 v[68:71], v126 offset:1344
	;; [unrolled: 1-line block ×5, first 2 shown]
.LBB0_3:
	s_or_b64 exec, exec, s[6:7]
	v_mov_b32_e32 v28, 37
	v_mul_lo_u16_sdwa v29, v125, v28 dst_sel:DWORD dst_unused:UNUSED_PAD src0_sel:BYTE_0 src1_sel:DWORD
	v_sub_u16_sdwa v30, v125, v29 dst_sel:DWORD dst_unused:UNUSED_PAD src0_sel:DWORD src1_sel:BYTE_1
	v_lshrrev_b16_e32 v30, 1, v30
	v_and_b32_e32 v30, 0x7f, v30
	v_add_u16_sdwa v29, v30, v29 dst_sel:DWORD dst_unused:UNUSED_PAD src0_sel:DWORD src1_sel:BYTE_1
	v_lshrrev_b16_e32 v162, 2, v29
	v_mul_lo_u16_e32 v29, 7, v162
	v_sub_u16_e32 v163, v125, v29
	v_mov_b32_e32 v29, 6
	v_lshlrev_b32_sdwa v30, v29, v163 dst_sel:DWORD dst_unused:UNUSED_PAD src0_sel:DWORD src1_sel:BYTE_0
	global_load_dwordx4 v[44:47], v30, s[10:11] offset:48
	global_load_dwordx4 v[48:51], v30, s[10:11] offset:32
	;; [unrolled: 1-line block ×3, first 2 shown]
	global_load_dwordx4 v[56:59], v30, s[10:11]
	v_add_u16_e32 v30, 35, v125
	v_mul_lo_u16_sdwa v28, v30, v28 dst_sel:DWORD dst_unused:UNUSED_PAD src0_sel:BYTE_0 src1_sel:DWORD
	v_sub_u16_sdwa v31, v30, v28 dst_sel:DWORD dst_unused:UNUSED_PAD src0_sel:DWORD src1_sel:BYTE_1
	v_lshrrev_b16_e32 v31, 1, v31
	v_and_b32_e32 v31, 0x7f, v31
	v_add_u16_sdwa v28, v31, v28 dst_sel:DWORD dst_unused:UNUSED_PAD src0_sel:DWORD src1_sel:BYTE_1
	v_lshrrev_b16_e32 v128, 2, v28
	v_mul_lo_u16_e32 v28, 7, v128
	v_sub_u16_e32 v129, v30, v28
	v_lshlrev_b32_sdwa v102, v29, v129 dst_sel:DWORD dst_unused:UNUSED_PAD src0_sel:DWORD src1_sel:BYTE_0
	global_load_dwordx4 v[28:31], v102, s[10:11]
	global_load_dwordx4 v[40:43], v102, s[10:11] offset:16
	global_load_dwordx4 v[36:39], v102, s[10:11] offset:32
	global_load_dwordx4 v[32:35], v102, s[10:11] offset:48
	s_mov_b32 s6, 0x134454ff
	s_mov_b32 s7, 0x3fee6f0e
	;; [unrolled: 1-line block ×10, first 2 shown]
	s_waitcnt vmcnt(0) lgkmcnt(0)
	s_barrier
	v_mul_f64 v[116:117], v[74:75], v[46:47]
	v_mul_f64 v[112:113], v[78:79], v[50:51]
	;; [unrolled: 1-line block ×8, first 2 shown]
	v_fma_f64 v[116:117], v[72:73], v[44:45], -v[116:117]
	v_fma_f64 v[112:113], v[76:77], v[48:49], -v[112:113]
	v_mul_f64 v[120:121], v[70:71], v[30:31]
	v_mul_f64 v[130:131], v[90:91], v[42:43]
	;; [unrolled: 1-line block ×5, first 2 shown]
	v_fma_f64 v[84:85], v[84:85], v[56:57], -v[102:103]
	v_fma_f64 v[86:87], v[86:87], v[56:57], v[104:105]
	v_fma_f64 v[104:105], v[80:81], v[52:53], -v[106:107]
	v_fma_f64 v[108:109], v[82:83], v[52:53], v[108:109]
	v_fma_f64 v[114:115], v[78:79], v[48:49], v[114:115]
	v_mul_f64 v[122:123], v[68:69], v[30:31]
	v_mul_f64 v[134:135], v[94:95], v[38:39]
	v_fma_f64 v[118:119], v[74:75], v[44:45], v[118:119]
	v_fma_f64 v[80:81], v[68:69], v[28:29], -v[120:121]
	v_fma_f64 v[76:77], v[88:89], v[40:41], -v[130:131]
	v_fma_f64 v[78:79], v[90:91], v[40:41], v[132:133]
	v_fma_f64 v[74:75], v[94:95], v[36:37], v[136:137]
	v_fma_f64 v[68:69], v[96:97], v[32:33], -v[138:139]
	v_add_f64 v[88:89], v[64:65], v[84:85]
	v_add_f64 v[90:91], v[104:105], v[112:113]
	;; [unrolled: 1-line block ×4, first 2 shown]
	v_mul_f64 v[140:141], v[96:97], v[34:35]
	v_fma_f64 v[82:83], v[70:71], v[28:29], v[122:123]
	v_fma_f64 v[70:71], v[92:93], v[36:37], -v[134:135]
	v_add_f64 v[92:93], v[86:87], -v[118:119]
	v_add_f64 v[94:95], v[108:109], -v[114:115]
	;; [unrolled: 1-line block ×3, first 2 shown]
	v_add_f64 v[130:131], v[84:85], v[116:117]
	v_add_f64 v[132:133], v[104:105], -v[84:85]
	v_add_f64 v[84:85], v[84:85], -v[116:117]
	v_add_f64 v[142:143], v[86:87], -v[108:109]
	v_add_f64 v[146:147], v[86:87], v[118:119]
	v_add_f64 v[86:87], v[108:109], -v[86:87]
	v_fma_f64 v[90:91], v[90:91], -0.5, v[64:65]
	v_fma_f64 v[138:139], v[138:139], -0.5, v[66:67]
	v_add_f64 v[88:89], v[88:89], v[104:105]
	v_add_f64 v[108:109], v[136:137], v[108:109]
	v_fma_f64 v[72:73], v[98:99], v[32:33], v[140:141]
	v_add_f64 v[122:123], v[116:117], -v[112:113]
	v_add_f64 v[134:135], v[112:113], -v[116:117]
	v_add_f64 v[140:141], v[104:105], -v[112:113]
	v_add_f64 v[144:145], v[118:119], -v[114:115]
	v_add_f64 v[148:149], v[114:115], -v[118:119]
	v_add_f64 v[150:151], v[76:77], v[70:71]
	v_fma_f64 v[130:131], v[130:131], -0.5, v[64:65]
	v_add_f64 v[88:89], v[88:89], v[112:113]
	v_fma_f64 v[112:113], v[92:93], s[6:7], v[90:91]
	v_fma_f64 v[90:91], v[92:93], s[18:19], v[90:91]
	v_add_f64 v[108:109], v[108:109], v[114:115]
	v_fma_f64 v[114:115], v[84:85], s[18:19], v[138:139]
	v_add_f64 v[96:97], v[82:83], -v[72:73]
	v_add_f64 v[156:157], v[80:81], v[68:69]
	v_add_f64 v[158:159], v[78:79], v[74:75]
	;; [unrolled: 1-line block ×3, first 2 shown]
	v_fma_f64 v[146:147], v[146:147], -0.5, v[66:67]
	v_add_f64 v[120:121], v[120:121], v[122:123]
	v_add_f64 v[122:123], v[142:143], v[144:145]
	v_fma_f64 v[64:65], v[150:151], -0.5, v[60:61]
	v_fma_f64 v[142:143], v[94:95], s[18:19], v[130:131]
	v_fma_f64 v[130:131], v[94:95], s[6:7], v[130:131]
	;; [unrolled: 1-line block ×6, first 2 shown]
	v_add_f64 v[98:99], v[78:79], -v[74:75]
	v_add_f64 v[152:153], v[80:81], -v[76:77]
	;; [unrolled: 1-line block ×5, first 2 shown]
	v_add_f64 v[133:134], v[132:133], v[134:135]
	v_add_f64 v[86:87], v[86:87], v[148:149]
	v_fma_f64 v[135:136], v[156:157], -0.5, v[60:61]
	v_fma_f64 v[104:105], v[158:159], -0.5, v[62:63]
	v_fma_f64 v[144:145], v[140:141], s[6:7], v[146:147]
	v_fma_f64 v[146:147], v[140:141], s[18:19], v[146:147]
	;; [unrolled: 1-line block ×3, first 2 shown]
	v_add_f64 v[112:113], v[88:89], v[116:117]
	v_fma_f64 v[88:89], v[92:93], s[12:13], v[142:143]
	v_fma_f64 v[92:93], v[92:93], s[16:17], v[130:131]
	;; [unrolled: 1-line block ×3, first 2 shown]
	v_add_f64 v[114:115], v[108:109], v[118:119]
	v_fma_f64 v[116:117], v[120:121], s[14:15], v[150:151]
	v_fma_f64 v[120:121], v[120:121], s[14:15], v[90:91]
	;; [unrolled: 1-line block ×3, first 2 shown]
	v_add_f64 v[90:91], v[76:77], -v[80:81]
	v_add_f64 v[94:95], v[70:71], -v[68:69]
	v_fma_f64 v[141:142], v[160:161], -0.5, v[62:63]
	v_add_f64 v[66:67], v[152:153], v[154:155]
	v_fma_f64 v[137:138], v[84:85], s[16:17], v[144:145]
	v_fma_f64 v[84:85], v[84:85], s[12:13], v[146:147]
	;; [unrolled: 1-line block ×4, first 2 shown]
	v_add_f64 v[108:109], v[82:83], -v[78:79]
	v_add_f64 v[130:131], v[72:73], -v[74:75]
	;; [unrolled: 1-line block ×4, first 2 shown]
	v_fma_f64 v[147:148], v[98:99], s[18:19], v[135:136]
	v_fma_f64 v[149:150], v[98:99], s[6:7], v[135:136]
	v_add_f64 v[90:91], v[90:91], v[94:95]
	v_fma_f64 v[94:95], v[106:107], s[6:7], v[104:105]
	v_fma_f64 v[151:152], v[102:103], s[6:7], v[141:142]
	;; [unrolled: 1-line block ×3, first 2 shown]
	v_add_f64 v[108:109], v[108:109], v[130:131]
	v_add_f64 v[143:144], v[143:144], v[145:146]
	v_fma_f64 v[131:132], v[133:134], s[14:15], v[88:89]
	v_fma_f64 v[88:89], v[96:97], s[12:13], v[147:148]
	v_fma_f64 v[145:146], v[96:97], s[16:17], v[149:150]
	v_fma_f64 v[94:95], v[102:103], s[12:13], v[94:95]
	v_fma_f64 v[147:148], v[106:107], s[16:17], v[151:152]
	v_fma_f64 v[141:142], v[106:107], s[12:13], v[141:142]
	v_fma_f64 v[135:136], v[133:134], s[14:15], v[92:93]
	v_fma_f64 v[133:134], v[86:87], s[14:15], v[137:138]
	v_fma_f64 v[137:138], v[86:87], s[14:15], v[84:85]
	v_fma_f64 v[92:93], v[66:67], s[14:15], v[139:140]
	v_fma_f64 v[84:85], v[90:91], s[14:15], v[88:89]
	v_fma_f64 v[88:89], v[90:91], s[14:15], v[145:146]
	v_fma_f64 v[94:95], v[108:109], s[14:15], v[94:95]
	v_fma_f64 v[86:87], v[143:144], s[14:15], v[147:148]
	v_fma_f64 v[90:91], v[143:144], s[14:15], v[141:142]
	v_mul_u32_u24_e32 v130, 35, v162
	v_add_u32_sdwa v130, v130, v163 dst_sel:DWORD dst_unused:UNUSED_PAD src0_sel:DWORD src1_sel:BYTE_0
	v_lshl_add_u32 v130, v130, 4, v127
	ds_write_b128 v130, v[112:115]
	ds_write_b128 v130, v[116:119] offset:112
	ds_write_b128 v130, v[131:134] offset:224
	;; [unrolled: 1-line block ×4, first 2 shown]
	s_and_saveexec_b64 s[16:17], vcc
	s_cbranch_execz .LBB0_5
; %bb.4:
	v_mul_f64 v[106:107], v[106:107], s[6:7]
	v_add_f64 v[62:63], v[62:63], v[82:83]
	v_add_f64 v[60:61], v[60:61], v[80:81]
	v_mul_f64 v[80:81], v[96:97], s[6:7]
	v_mul_f64 v[82:83], v[98:99], s[12:13]
	;; [unrolled: 1-line block ×3, first 2 shown]
	v_add_f64 v[98:99], v[104:105], -v[106:107]
	v_add_f64 v[62:63], v[62:63], v[78:79]
	v_add_f64 v[60:61], v[60:61], v[76:77]
	;; [unrolled: 1-line block ×3, first 2 shown]
	v_mul_f64 v[76:77], v[66:67], s[14:15]
	v_mul_f64 v[66:67], v[108:109], s[14:15]
	v_add_f64 v[78:79], v[98:99], -v[96:97]
	v_add_f64 v[74:75], v[62:63], v[74:75]
	v_add_f64 v[60:61], v[60:61], v[70:71]
	;; [unrolled: 1-line block ×7, first 2 shown]
	v_mul_u32_u24_e32 v68, 35, v128
	v_add_u32_sdwa v68, v68, v129 dst_sel:DWORD dst_unused:UNUSED_PAD src0_sel:DWORD src1_sel:BYTE_0
	v_lshl_add_u32 v68, v68, 4, v127
	ds_write_b128 v68, v[84:87] offset:224
	ds_write_b128 v68, v[88:91] offset:336
	ds_write_b128 v68, v[64:67]
	ds_write_b128 v68, v[60:63] offset:112
	ds_write_b128 v68, v[92:95] offset:448
.LBB0_5:
	s_or_b64 exec, exec, s[16:17]
	v_mov_b32_e32 v61, s11
	s_movk_i32 s6, 0x60
	v_mov_b32_e32 v60, s10
	v_mad_u64_u32 v[96:97], s[6:7], v125, s6, v[60:61]
	s_waitcnt lgkmcnt(0)
	s_barrier
	global_load_dwordx4 v[72:75], v[96:97], off offset:448
	global_load_dwordx4 v[68:71], v[96:97], off offset:464
	;; [unrolled: 1-line block ×6, first 2 shown]
	ds_read_b128 v[96:99], v126
	ds_read_b128 v[102:105], v126 offset:560
	ds_read_b128 v[106:109], v126 offset:1120
	;; [unrolled: 1-line block ×6, first 2 shown]
	s_mov_b32 s10, 0x37e14327
	s_mov_b32 s6, 0x36b3c0b5
	;; [unrolled: 1-line block ×22, first 2 shown]
	s_add_u32 s8, s8, 0xf50
	s_addc_u32 s9, s9, 0
	s_waitcnt vmcnt(5) lgkmcnt(5)
	v_mul_f64 v[135:136], v[104:105], v[74:75]
	v_mul_f64 v[137:138], v[102:103], v[74:75]
	s_waitcnt vmcnt(4) lgkmcnt(4)
	v_mul_f64 v[139:140], v[108:109], v[70:71]
	v_mul_f64 v[141:142], v[106:107], v[70:71]
	;; [unrolled: 3-line block ×3, first 2 shown]
	s_waitcnt vmcnt(0)
	v_mul_f64 v[155:156], v[122:123], v[82:83]
	v_mul_f64 v[157:158], v[120:121], v[82:83]
	;; [unrolled: 1-line block ×6, first 2 shown]
	v_fma_f64 v[102:103], v[102:103], v[72:73], -v[135:136]
	v_fma_f64 v[104:105], v[104:105], v[72:73], v[137:138]
	v_fma_f64 v[106:107], v[106:107], v[68:69], -v[139:140]
	v_fma_f64 v[108:109], v[108:109], v[68:69], v[141:142]
	;; [unrolled: 2-line block ×6, first 2 shown]
	v_add_f64 v[135:136], v[102:103], v[131:132]
	v_add_f64 v[137:138], v[104:105], v[133:134]
	v_add_f64 v[102:103], v[102:103], -v[131:132]
	v_add_f64 v[104:105], v[104:105], -v[133:134]
	v_add_f64 v[131:132], v[106:107], v[120:121]
	v_add_f64 v[133:134], v[108:109], v[122:123]
	v_add_f64 v[106:107], v[106:107], -v[120:121]
	v_add_f64 v[108:109], v[108:109], -v[122:123]
	;; [unrolled: 4-line block ×4, first 2 shown]
	v_add_f64 v[135:136], v[135:136], -v[120:121]
	v_add_f64 v[137:138], v[137:138], -v[122:123]
	;; [unrolled: 1-line block ×4, first 2 shown]
	v_add_f64 v[143:144], v[112:113], v[106:107]
	v_add_f64 v[145:146], v[114:115], v[108:109]
	v_add_f64 v[147:148], v[112:113], -v[106:107]
	v_add_f64 v[149:150], v[114:115], -v[108:109]
	v_add_f64 v[116:117], v[120:121], v[116:117]
	v_add_f64 v[118:119], v[122:123], v[118:119]
	v_add_f64 v[106:107], v[106:107], -v[102:103]
	v_add_f64 v[108:109], v[108:109], -v[104:105]
	;; [unrolled: 1-line block ×4, first 2 shown]
	v_add_f64 v[102:103], v[143:144], v[102:103]
	v_add_f64 v[104:105], v[145:146], v[104:105]
	v_mul_f64 v[120:121], v[135:136], s[10:11]
	v_mul_f64 v[122:123], v[137:138], s[10:11]
	;; [unrolled: 1-line block ×6, first 2 shown]
	v_add_f64 v[96:97], v[96:97], v[116:117]
	v_add_f64 v[98:99], v[98:99], v[118:119]
	v_mul_f64 v[147:148], v[106:107], s[12:13]
	v_mul_f64 v[149:150], v[108:109], s[12:13]
	v_fma_f64 v[131:132], v[131:132], s[6:7], v[120:121]
	v_fma_f64 v[133:134], v[133:134], s[6:7], v[122:123]
	v_fma_f64 v[135:136], v[139:140], s[18:19], -v[135:136]
	v_fma_f64 v[137:138], v[141:142], s[18:19], -v[137:138]
	;; [unrolled: 1-line block ×4, first 2 shown]
	v_fma_f64 v[139:140], v[112:113], s[20:21], v[143:144]
	v_fma_f64 v[141:142], v[114:115], s[20:21], v[145:146]
	;; [unrolled: 1-line block ×6, first 2 shown]
	v_fma_f64 v[106:107], v[106:107], s[28:29], -v[143:144]
	v_fma_f64 v[108:109], v[108:109], s[28:29], -v[145:146]
	v_fma_f64 v[139:140], v[102:103], s[24:25], v[139:140]
	v_fma_f64 v[141:142], v[104:105], s[24:25], v[141:142]
	v_add_f64 v[131:132], v[131:132], v[116:117]
	v_add_f64 v[133:134], v[133:134], v[118:119]
	v_fma_f64 v[147:148], v[102:103], s[24:25], v[112:113]
	v_fma_f64 v[149:150], v[104:105], s[24:25], v[114:115]
	v_add_f64 v[120:121], v[120:121], v[116:117]
	v_add_f64 v[122:123], v[122:123], v[118:119]
	;; [unrolled: 4-line block ×3, first 2 shown]
	v_add_f64 v[102:103], v[141:142], v[131:132]
	v_add_f64 v[104:105], v[133:134], -v[139:140]
	v_add_f64 v[106:107], v[149:150], v[120:121]
	v_add_f64 v[108:109], v[122:123], -v[147:148]
	v_add_f64 v[120:121], v[120:121], -v[149:150]
	v_add_f64 v[122:123], v[147:148], v[122:123]
	v_add_f64 v[112:113], v[116:117], -v[145:146]
	v_add_f64 v[114:115], v[143:144], v[118:119]
	v_add_f64 v[116:117], v[145:146], v[116:117]
	v_add_f64 v[118:119], v[118:119], -v[143:144]
	v_add_f64 v[131:132], v[131:132], -v[141:142]
	v_add_f64 v[133:134], v[139:140], v[133:134]
	ds_write_b128 v126, v[96:99]
	ds_write_b128 v126, v[102:105] offset:560
	ds_write_b128 v126, v[106:109] offset:1120
	;; [unrolled: 1-line block ×6, first 2 shown]
	s_waitcnt lgkmcnt(0)
	s_barrier
	global_load_dwordx4 v[96:99], v[100:101], off offset:3920
	s_nop 0
	global_load_dwordx4 v[100:103], v110, s[8:9] offset:560
	global_load_dwordx4 v[104:107], v110, s[8:9] offset:1120
	global_load_dwordx4 v[112:115], v110, s[8:9] offset:1680
	global_load_dwordx4 v[116:119], v110, s[8:9] offset:2240
	global_load_dwordx4 v[120:123], v110, s[8:9] offset:2800
	global_load_dwordx4 v[131:134], v110, s[8:9] offset:3360
	ds_read_b128 v[135:138], v126
	ds_read_b128 v[139:142], v126 offset:560
	ds_read_b128 v[143:146], v126 offset:1120
	;; [unrolled: 1-line block ×6, first 2 shown]
	s_mov_b32 s17, 0x3fe11646
	s_mov_b32 s25, 0xbfdc38aa
	s_waitcnt vmcnt(5) lgkmcnt(5)
	v_mul_f64 v[163:164], v[141:142], v[102:103]
	v_mul_f64 v[102:103], v[139:140], v[102:103]
	s_waitcnt vmcnt(4) lgkmcnt(4)
	v_mul_f64 v[165:166], v[145:146], v[106:107]
	v_mul_f64 v[167:168], v[143:144], v[106:107]
	v_mul_f64 v[108:109], v[137:138], v[98:99]
	v_mul_f64 v[98:99], v[135:136], v[98:99]
	s_waitcnt vmcnt(3) lgkmcnt(3)
	v_mul_f64 v[169:170], v[149:150], v[114:115]
	v_mul_f64 v[114:115], v[147:148], v[114:115]
	s_waitcnt vmcnt(2) lgkmcnt(2)
	v_mul_f64 v[171:172], v[153:154], v[118:119]
	v_mul_f64 v[118:119], v[151:152], v[118:119]
	;; [unrolled: 3-line block ×4, first 2 shown]
	v_fma_f64 v[106:107], v[135:136], v[96:97], -v[108:109]
	v_fma_f64 v[108:109], v[137:138], v[96:97], v[98:99]
	v_fma_f64 v[96:97], v[139:140], v[100:101], -v[163:164]
	v_fma_f64 v[98:99], v[141:142], v[100:101], v[102:103]
	;; [unrolled: 2-line block ×7, first 2 shown]
	ds_write_b128 v126, v[106:109]
	ds_write_b128 v126, v[96:99] offset:560
	ds_write_b128 v126, v[100:103] offset:1120
	;; [unrolled: 1-line block ×6, first 2 shown]
	s_waitcnt lgkmcnt(0)
	s_barrier
	ds_read_b128 v[96:99], v126
	ds_read_b128 v[100:103], v126 offset:560
	ds_read_b128 v[104:107], v126 offset:3360
	;; [unrolled: 1-line block ×6, first 2 shown]
	s_waitcnt lgkmcnt(4)
	v_add_f64 v[108:109], v[100:101], v[104:105]
	v_add_f64 v[135:136], v[102:103], v[106:107]
	v_add_f64 v[100:101], v[100:101], -v[104:105]
	v_add_f64 v[102:103], v[102:103], -v[106:107]
	s_waitcnt lgkmcnt(0)
	v_add_f64 v[104:105], v[112:113], v[131:132]
	v_add_f64 v[106:107], v[114:115], v[133:134]
	v_add_f64 v[112:113], v[112:113], -v[131:132]
	v_add_f64 v[114:115], v[114:115], -v[133:134]
	v_add_f64 v[131:132], v[116:117], v[120:121]
	v_add_f64 v[133:134], v[118:119], v[122:123]
	v_add_f64 v[116:117], v[120:121], -v[116:117]
	v_add_f64 v[118:119], v[122:123], -v[118:119]
	;; [unrolled: 4-line block ×3, first 2 shown]
	v_add_f64 v[108:109], v[108:109], -v[131:132]
	v_add_f64 v[135:136], v[135:136], -v[133:134]
	;; [unrolled: 1-line block ×4, first 2 shown]
	v_add_f64 v[104:105], v[116:117], v[112:113]
	v_add_f64 v[106:107], v[118:119], v[114:115]
	v_add_f64 v[145:146], v[116:117], -v[112:113]
	v_add_f64 v[147:148], v[118:119], -v[114:115]
	v_add_f64 v[120:121], v[131:132], v[120:121]
	v_add_f64 v[122:123], v[133:134], v[122:123]
	v_add_f64 v[112:113], v[112:113], -v[100:101]
	v_add_f64 v[114:115], v[114:115], -v[102:103]
	;; [unrolled: 1-line block ×4, first 2 shown]
	v_add_f64 v[100:101], v[104:105], v[100:101]
	v_add_f64 v[102:103], v[106:107], v[102:103]
	v_mul_f64 v[108:109], v[108:109], s[10:11]
	v_mul_f64 v[131:132], v[135:136], s[10:11]
	v_mul_f64 v[133:134], v[141:142], s[6:7]
	v_mul_f64 v[135:136], v[143:144], s[6:7]
	v_mul_f64 v[145:146], v[145:146], s[16:17]
	v_mul_f64 v[147:148], v[147:148], s[16:17]
	v_add_f64 v[104:105], v[96:97], v[120:121]
	v_add_f64 v[106:107], v[98:99], v[122:123]
	v_mul_f64 v[149:150], v[112:113], s[28:29]
	v_mul_f64 v[151:152], v[114:115], s[28:29]
	v_fma_f64 v[96:97], v[141:142], s[6:7], v[108:109]
	v_fma_f64 v[98:99], v[143:144], s[6:7], v[131:132]
	v_fma_f64 v[133:134], v[137:138], s[18:19], -v[133:134]
	v_fma_f64 v[135:136], v[139:140], s[18:19], -v[135:136]
	;; [unrolled: 1-line block ×4, first 2 shown]
	v_fma_f64 v[137:138], v[116:117], s[26:27], v[145:146]
	v_fma_f64 v[139:140], v[118:119], s[26:27], v[147:148]
	;; [unrolled: 1-line block ×4, first 2 shown]
	v_fma_f64 v[112:113], v[112:113], s[12:13], -v[145:146]
	v_fma_f64 v[114:115], v[114:115], s[12:13], -v[147:148]
	v_fma_f64 v[116:117], v[116:117], s[20:21], v[149:150]
	v_fma_f64 v[118:119], v[118:119], s[20:21], v[151:152]
	;; [unrolled: 1-line block ×4, first 2 shown]
	v_add_f64 v[145:146], v[96:97], v[120:121]
	v_add_f64 v[147:148], v[98:99], v[122:123]
	v_fma_f64 v[141:142], v[100:101], s[24:25], v[112:113]
	v_fma_f64 v[143:144], v[102:103], s[24:25], v[114:115]
	;; [unrolled: 1-line block ×4, first 2 shown]
	v_add_f64 v[96:97], v[108:109], v[120:121]
	v_add_f64 v[98:99], v[131:132], v[122:123]
	;; [unrolled: 1-line block ×5, first 2 shown]
	v_add_f64 v[114:115], v[147:148], -v[137:138]
	s_barrier
	v_add_f64 v[116:117], v[96:97], v[102:103]
	v_add_f64 v[118:119], v[98:99], -v[100:101]
	v_add_f64 v[120:121], v[108:109], -v[143:144]
	v_add_f64 v[122:123], v[141:142], v[133:134]
	v_add_f64 v[131:132], v[108:109], v[143:144]
	v_add_f64 v[133:134], v[133:134], -v[141:142]
	v_add_f64 v[96:97], v[96:97], -v[102:103]
	v_add_f64 v[98:99], v[100:101], v[98:99]
	v_add_f64 v[100:101], v[145:146], -v[139:140]
	v_add_f64 v[102:103], v[137:138], v[147:148]
	ds_write_b128 v111, v[104:107]
	ds_write_b128 v111, v[112:115] offset:16
	ds_write_b128 v111, v[116:119] offset:32
	;; [unrolled: 1-line block ×6, first 2 shown]
	s_waitcnt lgkmcnt(0)
	s_barrier
	ds_read_b128 v[104:107], v126
	ds_read_b128 v[120:123], v126 offset:784
	ds_read_b128 v[108:111], v126 offset:1568
	;; [unrolled: 1-line block ×4, first 2 shown]
	s_and_saveexec_b64 s[6:7], vcc
	s_cbranch_execz .LBB0_7
; %bb.6:
	ds_read_b128 v[96:99], v126 offset:560
	ds_read_b128 v[100:103], v126 offset:1344
	;; [unrolled: 1-line block ×5, first 2 shown]
.LBB0_7:
	s_or_b64 exec, exec, s[6:7]
	s_waitcnt lgkmcnt(2)
	v_mul_f64 v[131:132], v[54:55], v[110:111]
	s_waitcnt lgkmcnt(1)
	v_mul_f64 v[133:134], v[50:51], v[114:115]
	v_mul_f64 v[135:136], v[58:59], v[122:123]
	v_mul_f64 v[58:59], v[58:59], v[120:121]
	v_mul_f64 v[54:55], v[54:55], v[108:109]
	s_waitcnt lgkmcnt(0)
	v_mul_f64 v[137:138], v[46:47], v[116:117]
	v_mul_f64 v[50:51], v[50:51], v[112:113]
	;; [unrolled: 1-line block ×3, first 2 shown]
	v_fma_f64 v[108:109], v[52:53], v[108:109], v[131:132]
	v_fma_f64 v[131:132], v[48:49], v[112:113], v[133:134]
	;; [unrolled: 1-line block ×3, first 2 shown]
	v_fma_f64 v[56:57], v[56:57], v[122:123], -v[58:59]
	v_fma_f64 v[52:53], v[52:53], v[110:111], -v[54:55]
	;; [unrolled: 1-line block ×4, first 2 shown]
	v_fma_f64 v[46:47], v[44:45], v[116:117], v[46:47]
	s_mov_b32 s6, 0x134454ff
	v_add_f64 v[118:119], v[108:109], v[131:132]
	v_add_f64 v[44:45], v[104:105], v[112:113]
	s_mov_b32 s7, 0xbfee6f0e
	v_add_f64 v[114:115], v[112:113], -v[108:109]
	v_add_f64 v[54:55], v[56:57], -v[58:59]
	;; [unrolled: 1-line block ×4, first 2 shown]
	s_mov_b32 s8, 0x4755a5e
	v_fma_f64 v[48:49], v[118:119], -0.5, v[104:105]
	v_add_f64 v[118:119], v[112:113], v[46:47]
	v_add_f64 v[44:45], v[44:45], v[108:109]
	s_mov_b32 s9, 0xbfe2cf23
	v_add_f64 v[137:138], v[56:57], v[58:59]
	s_mov_b32 s10, 0x372fe950
	;; [unrolled: 2-line block ×3, first 2 shown]
	v_fma_f64 v[120:121], v[54:55], s[6:7], v[48:49]
	v_fma_f64 v[104:105], v[118:119], -0.5, v[104:105]
	v_add_f64 v[44:45], v[44:45], v[131:132]
	v_add_f64 v[118:119], v[52:53], v[50:51]
	s_mov_b32 s12, s6
	s_mov_b32 s11, 0x3fd3c6ef
	v_fma_f64 v[133:134], v[54:55], s[12:13], v[48:49]
	v_add_f64 v[135:136], v[106:107], v[56:57]
	v_fma_f64 v[116:117], v[110:111], s[8:9], v[120:121]
	v_add_f64 v[122:123], v[108:109], -v[112:113]
	v_add_f64 v[120:121], v[131:132], -v[46:47]
	v_add_f64 v[44:45], v[44:45], v[46:47]
	v_add_f64 v[46:47], v[112:113], -v[46:47]
	v_add_f64 v[108:109], v[108:109], -v[131:132]
	s_mov_b32 s15, 0x3fe2cf23
	s_mov_b32 s14, s8
	v_fma_f64 v[48:49], v[114:115], s[10:11], v[116:117]
	v_fma_f64 v[116:117], v[118:119], -0.5, v[106:107]
	v_fma_f64 v[106:107], v[137:138], -0.5, v[106:107]
	v_fma_f64 v[139:140], v[110:111], s[12:13], v[104:105]
	v_fma_f64 v[112:113], v[110:111], s[14:15], v[133:134]
	;; [unrolled: 1-line block ×3, first 2 shown]
	v_add_f64 v[110:111], v[135:136], v[52:53]
	v_add_f64 v[120:121], v[122:123], v[120:121]
	v_add_f64 v[131:132], v[56:57], -v[52:53]
	v_fma_f64 v[122:123], v[46:47], s[12:13], v[116:117]
	v_add_f64 v[133:134], v[58:59], -v[50:51]
	v_fma_f64 v[135:136], v[108:109], s[6:7], v[106:107]
	v_add_f64 v[52:53], v[52:53], -v[56:57]
	v_add_f64 v[56:57], v[50:51], -v[58:59]
	v_fma_f64 v[106:107], v[108:109], s[12:13], v[106:107]
	v_fma_f64 v[116:117], v[46:47], s[6:7], v[116:117]
	v_add_f64 v[50:51], v[110:111], v[50:51]
	v_fma_f64 v[110:111], v[108:109], s[14:15], v[122:123]
	v_add_f64 v[122:123], v[131:132], v[133:134]
	v_fma_f64 v[118:119], v[54:55], s[8:9], v[139:140]
	v_fma_f64 v[131:132], v[46:47], s[14:15], v[135:136]
	v_add_f64 v[133:134], v[52:53], v[56:57]
	v_fma_f64 v[54:55], v[54:55], s[14:15], v[104:105]
	v_fma_f64 v[106:107], v[46:47], s[8:9], v[106:107]
	;; [unrolled: 1-line block ×3, first 2 shown]
	v_add_f64 v[46:47], v[50:51], v[58:59]
	v_fma_f64 v[50:51], v[122:123], s[10:11], v[110:111]
	v_fma_f64 v[56:57], v[120:121], s[10:11], v[118:119]
	;; [unrolled: 1-line block ×7, first 2 shown]
	s_barrier
	ds_write_b128 v130, v[44:47]
	ds_write_b128 v130, v[48:51] offset:112
	ds_write_b128 v130, v[56:59] offset:224
	;; [unrolled: 1-line block ×4, first 2 shown]
	s_and_saveexec_b64 s[16:17], vcc
	s_cbranch_execz .LBB0_9
; %bb.8:
	v_mul_f64 v[46:47], v[30:31], v[100:101]
	v_mul_f64 v[48:49], v[34:35], v[92:93]
	;; [unrolled: 1-line block ×8, first 2 shown]
	v_fma_f64 v[46:47], v[28:29], v[102:103], -v[46:47]
	v_fma_f64 v[48:49], v[32:33], v[94:95], -v[48:49]
	;; [unrolled: 1-line block ×4, first 2 shown]
	v_fma_f64 v[40:41], v[40:41], v[84:85], v[42:43]
	v_fma_f64 v[36:37], v[36:37], v[88:89], v[38:39]
	;; [unrolled: 1-line block ×4, first 2 shown]
	v_add_f64 v[84:85], v[98:99], v[46:47]
	v_add_f64 v[30:31], v[46:47], v[48:49]
	v_add_f64 v[34:35], v[44:45], -v[46:47]
	v_add_f64 v[54:55], v[44:45], v[50:51]
	v_add_f64 v[38:39], v[50:51], -v[48:49]
	v_add_f64 v[42:43], v[40:41], -v[36:37]
	;; [unrolled: 1-line block ×5, first 2 shown]
	v_fma_f64 v[30:31], v[30:31], -0.5, v[98:99]
	v_add_f64 v[90:91], v[28:29], v[32:33]
	v_fma_f64 v[54:55], v[54:55], -0.5, v[98:99]
	v_add_f64 v[98:99], v[40:41], v[36:37]
	v_add_f64 v[100:101], v[96:97], v[28:29]
	v_add_f64 v[34:35], v[34:35], v[38:39]
	v_add_f64 v[46:47], v[46:47], -v[48:49]
	v_add_f64 v[94:95], v[44:45], -v[50:51]
	v_fma_f64 v[92:93], v[42:43], s[12:13], v[30:31]
	v_fma_f64 v[30:31], v[42:43], s[6:7], v[30:31]
	;; [unrolled: 1-line block ×4, first 2 shown]
	v_add_f64 v[44:45], v[84:85], v[44:45]
	v_fma_f64 v[84:85], v[98:99], -0.5, v[96:97]
	v_add_f64 v[56:57], v[56:57], v[58:59]
	v_fma_f64 v[58:59], v[90:91], -0.5, v[96:97]
	v_fma_f64 v[92:93], v[52:53], s[8:9], v[92:93]
	v_fma_f64 v[52:53], v[52:53], s[14:15], v[30:31]
	v_add_f64 v[86:87], v[40:41], -v[28:29]
	v_add_f64 v[28:29], v[28:29], -v[40:41]
	v_add_f64 v[40:41], v[100:101], v[40:41]
	v_fma_f64 v[38:39], v[42:43], s[8:9], v[38:39]
	v_fma_f64 v[42:43], v[42:43], s[14:15], v[54:55]
	;; [unrolled: 1-line block ×5, first 2 shown]
	v_add_f64 v[52:53], v[32:33], -v[36:37]
	v_add_f64 v[88:89], v[36:37], -v[32:33]
	v_fma_f64 v[90:91], v[94:95], s[12:13], v[58:59]
	v_fma_f64 v[58:59], v[94:95], s[6:7], v[58:59]
	;; [unrolled: 1-line block ×3, first 2 shown]
	v_add_f64 v[44:45], v[44:45], v[50:51]
	v_fma_f64 v[42:43], v[56:57], s[10:11], v[42:43]
	v_fma_f64 v[38:39], v[56:57], s[10:11], v[38:39]
	v_add_f64 v[52:53], v[28:29], v[52:53]
	v_add_f64 v[28:29], v[40:41], v[36:37]
	v_fma_f64 v[36:37], v[94:95], s[8:9], v[54:55]
	v_add_f64 v[50:51], v[86:87], v[88:89]
	v_fma_f64 v[54:55], v[46:47], s[8:9], v[90:91]
	v_fma_f64 v[58:59], v[46:47], s[14:15], v[58:59]
	v_fma_f64 v[84:85], v[94:95], s[14:15], v[84:85]
	v_add_f64 v[46:47], v[44:45], v[48:49]
	v_mul_u32_u24_e32 v48, 35, v128
	v_add_f64 v[44:45], v[28:29], v[32:33]
	v_fma_f64 v[40:41], v[52:53], s[10:11], v[36:37]
	v_add_u32_sdwa v48, v48, v129 dst_sel:DWORD dst_unused:UNUSED_PAD src0_sel:DWORD src1_sel:BYTE_0
	v_fma_f64 v[32:33], v[50:51], s[10:11], v[54:55]
	v_fma_f64 v[28:29], v[50:51], s[10:11], v[58:59]
	;; [unrolled: 1-line block ×3, first 2 shown]
	v_lshl_add_u32 v48, v48, 4, v127
	ds_write_b128 v48, v[44:47]
	ds_write_b128 v48, v[40:43] offset:112
	ds_write_b128 v48, v[32:35] offset:224
	;; [unrolled: 1-line block ×4, first 2 shown]
.LBB0_9:
	s_or_b64 exec, exec, s[16:17]
	s_waitcnt lgkmcnt(0)
	s_barrier
	ds_read_b128 v[28:31], v126 offset:560
	ds_read_b128 v[32:35], v126 offset:1120
	;; [unrolled: 1-line block ×3, first 2 shown]
	ds_read_b128 v[40:43], v126
	ds_read_b128 v[44:47], v126 offset:2240
	ds_read_b128 v[48:51], v126 offset:2800
	;; [unrolled: 1-line block ×3, first 2 shown]
	s_mov_b32 s6, 0x37e14327
	s_waitcnt lgkmcnt(6)
	v_mul_f64 v[56:57], v[74:75], v[30:31]
	v_mul_f64 v[58:59], v[74:75], v[28:29]
	s_waitcnt lgkmcnt(5)
	v_mul_f64 v[74:75], v[70:71], v[34:35]
	v_mul_f64 v[70:71], v[70:71], v[32:33]
	s_mov_b32 s7, 0x3fe948f6
	s_mov_b32 s8, 0xe976ee23
	;; [unrolled: 1-line block ×4, first 2 shown]
	v_fma_f64 v[28:29], v[72:73], v[28:29], v[56:57]
	v_fma_f64 v[30:31], v[72:73], v[30:31], -v[58:59]
	s_waitcnt lgkmcnt(0)
	v_mul_f64 v[56:57], v[78:79], v[54:55]
	v_fma_f64 v[34:35], v[68:69], v[34:35], -v[70:71]
	v_mul_f64 v[58:59], v[78:79], v[52:53]
	v_mul_f64 v[70:71], v[82:83], v[50:51]
	v_mul_f64 v[72:73], v[82:83], v[48:49]
	v_fma_f64 v[32:33], v[68:69], v[32:33], v[74:75]
	v_mul_f64 v[68:69], v[66:67], v[38:39]
	v_mul_f64 v[66:67], v[66:67], v[36:37]
	;; [unrolled: 1-line block ×4, first 2 shown]
	v_fma_f64 v[52:53], v[76:77], v[52:53], v[56:57]
	v_fma_f64 v[54:55], v[76:77], v[54:55], -v[58:59]
	v_fma_f64 v[48:49], v[80:81], v[48:49], v[70:71]
	v_fma_f64 v[50:51], v[80:81], v[50:51], -v[72:73]
	;; [unrolled: 2-line block ×4, first 2 shown]
	v_add_f64 v[56:57], v[28:29], v[52:53]
	v_add_f64 v[58:59], v[30:31], v[54:55]
	v_add_f64 v[28:29], v[28:29], -v[52:53]
	v_add_f64 v[30:31], v[30:31], -v[54:55]
	v_add_f64 v[52:53], v[32:33], v[48:49]
	v_add_f64 v[54:55], v[34:35], v[50:51]
	v_add_f64 v[32:33], v[32:33], -v[48:49]
	v_add_f64 v[34:35], v[34:35], -v[50:51]
	v_add_f64 v[48:49], v[36:37], v[44:45]
	v_add_f64 v[50:51], v[38:39], v[46:47]
	v_add_f64 v[36:37], v[44:45], -v[36:37]
	v_add_f64 v[38:39], v[46:47], -v[38:39]
	v_add_f64 v[44:45], v[52:53], v[56:57]
	v_add_f64 v[46:47], v[54:55], v[58:59]
	v_add_f64 v[60:61], v[52:53], -v[56:57]
	v_add_f64 v[62:63], v[54:55], -v[58:59]
	v_add_f64 v[56:57], v[56:57], -v[48:49]
	v_add_f64 v[58:59], v[58:59], -v[50:51]
	v_add_f64 v[64:65], v[36:37], v[32:33]
	v_add_f64 v[66:67], v[38:39], v[34:35]
	;; [unrolled: 1-line block ×4, first 2 shown]
	v_add_f64 v[52:53], v[48:49], -v[52:53]
	v_add_f64 v[54:55], v[50:51], -v[54:55]
	;; [unrolled: 1-line block ×8, first 2 shown]
	v_add_f64 v[48:49], v[64:65], v[28:29]
	v_add_f64 v[50:51], v[66:67], v[30:31]
	;; [unrolled: 1-line block ×4, first 2 shown]
	v_mul_f64 v[40:41], v[56:57], s[6:7]
	v_mul_f64 v[42:43], v[58:59], s[6:7]
	s_mov_b32 s6, 0x36b3c0b5
	s_mov_b32 s7, 0x3fac98ee
	v_mul_f64 v[56:57], v[52:53], s[6:7]
	v_mul_f64 v[58:59], v[54:55], s[6:7]
	;; [unrolled: 1-line block ×4, first 2 shown]
	s_mov_b32 s8, 0x429ad128
	s_mov_b32 s9, 0xbfebfeb5
	v_mul_f64 v[68:69], v[32:33], s[8:9]
	v_mul_f64 v[70:71], v[34:35], s[8:9]
	v_fma_f64 v[52:53], v[52:53], s[6:7], v[40:41]
	v_fma_f64 v[54:55], v[54:55], s[6:7], v[42:43]
	s_mov_b32 s7, 0x3fe77f67
	s_mov_b32 s6, 0x5476071b
	v_fma_f64 v[56:57], v[60:61], s[6:7], -v[56:57]
	v_fma_f64 v[58:59], v[62:63], s[6:7], -v[58:59]
	s_mov_b32 s7, 0xbfe77f67
	s_mov_b32 s11, 0xbff2aaaa
	v_fma_f64 v[40:41], v[60:61], s[6:7], -v[40:41]
	v_fma_f64 v[42:43], v[62:63], s[6:7], -v[42:43]
	s_mov_b32 s7, 0xbfd5d0dc
	s_mov_b32 s6, 0xb247c609
	v_fma_f64 v[44:45], v[44:45], s[10:11], v[28:29]
	v_fma_f64 v[46:47], v[46:47], s[10:11], v[30:31]
	;; [unrolled: 1-line block ×4, first 2 shown]
	s_mov_b32 s7, 0x3fd5d0dc
	v_fma_f64 v[36:37], v[36:37], s[6:7], -v[68:69]
	v_fma_f64 v[38:39], v[38:39], s[6:7], -v[70:71]
	;; [unrolled: 1-line block ×4, first 2 shown]
	s_mov_b32 s6, 0x37c3f68c
	s_mov_b32 s7, 0xbfdc38aa
	v_add_f64 v[52:53], v[52:53], v[44:45]
	v_add_f64 v[54:55], v[54:55], v[46:47]
	v_fma_f64 v[62:63], v[50:51], s[6:7], v[62:63]
	v_fma_f64 v[60:61], v[48:49], s[6:7], v[60:61]
	v_add_f64 v[64:65], v[40:41], v[44:45]
	v_add_f64 v[66:67], v[42:43], v[46:47]
	v_fma_f64 v[68:69], v[50:51], s[6:7], v[38:39]
	v_fma_f64 v[70:71], v[48:49], s[6:7], v[36:37]
	v_add_f64 v[56:57], v[56:57], v[44:45]
	v_add_f64 v[58:59], v[58:59], v[46:47]
	v_fma_f64 v[44:45], v[50:51], s[6:7], v[34:35]
	v_fma_f64 v[46:47], v[48:49], s[6:7], v[32:33]
	v_add_f64 v[32:33], v[62:63], v[52:53]
	v_add_f64 v[34:35], v[54:55], -v[60:61]
	v_add_f64 v[36:37], v[68:69], v[64:65]
	v_add_f64 v[38:39], v[66:67], -v[70:71]
	v_add_f64 v[48:49], v[64:65], -v[68:69]
	v_add_f64 v[50:51], v[70:71], v[66:67]
	v_add_f64 v[40:41], v[56:57], -v[44:45]
	v_add_f64 v[42:43], v[46:47], v[58:59]
	v_add_f64 v[44:45], v[44:45], v[56:57]
	v_add_f64 v[46:47], v[58:59], -v[46:47]
	v_add_f64 v[52:53], v[52:53], -v[62:63]
	v_add_f64 v[54:55], v[60:61], v[54:55]
	ds_write_b128 v126, v[28:31]
	ds_write_b128 v126, v[32:35] offset:560
	ds_write_b128 v126, v[36:39] offset:1120
	;; [unrolled: 1-line block ×6, first 2 shown]
	s_waitcnt lgkmcnt(0)
	s_barrier
	ds_read_b128 v[28:31], v126
	ds_read_b128 v[32:35], v126 offset:560
	v_mad_u64_u32 v[36:37], s[6:7], s2, v124, 0
	s_waitcnt lgkmcnt(1)
	v_mul_f64 v[38:39], v[26:27], v[30:31]
	v_mul_f64 v[26:27], v[26:27], v[28:29]
	v_mad_u64_u32 v[40:41], s[2:3], s3, v124, v[37:38]
	v_mad_u64_u32 v[41:42], s[2:3], s0, v125, 0
	v_fma_f64 v[28:29], v[24:25], v[28:29], v[38:39]
	v_fma_f64 v[26:27], v[24:25], v[30:31], -v[26:27]
	v_mov_b32_e32 v24, v42
	v_mad_u64_u32 v[30:31], s[2:3], s1, v125, v[24:25]
	s_mov_b32 s2, 0xec259dc8
	s_mov_b32 s3, 0x3f70b7e6
	v_mov_b32_e32 v42, v30
	s_waitcnt lgkmcnt(0)
	v_mul_f64 v[30:31], v[14:15], v[34:35]
	v_mul_f64 v[14:15], v[14:15], v[32:33]
	v_mov_b32_e32 v37, v40
	v_mul_f64 v[24:25], v[28:29], s[2:3]
	v_mul_f64 v[26:27], v[26:27], s[2:3]
	v_lshlrev_b64 v[28:29], 4, v[36:37]
	v_mov_b32_e32 v36, s5
	v_add_co_u32_e32 v37, vcc, s4, v28
	v_fma_f64 v[30:31], v[12:13], v[32:33], v[30:31]
	v_fma_f64 v[32:33], v[12:13], v[34:35], -v[14:15]
	ds_read_b128 v[12:15], v126 offset:1120
	v_addc_co_u32_e32 v36, vcc, v36, v29, vcc
	v_lshlrev_b64 v[28:29], 4, v[41:42]
	s_mulk_i32 s1, 0x230
	v_add_co_u32_e32 v34, vcc, v37, v28
	v_addc_co_u32_e32 v35, vcc, v36, v29, vcc
	global_store_dwordx4 v[34:35], v[24:27], off
	s_mul_hi_u32 s4, s0, 0x230
	v_mul_f64 v[24:25], v[30:31], s[2:3]
	ds_read_b128 v[28:31], v126 offset:1680
	s_waitcnt lgkmcnt(1)
	v_mul_f64 v[36:37], v[18:19], v[14:15]
	v_mul_f64 v[18:19], v[18:19], v[12:13]
	;; [unrolled: 1-line block ×3, first 2 shown]
	s_add_i32 s1, s4, s1
	s_waitcnt lgkmcnt(0)
	v_mul_f64 v[32:33], v[6:7], v[30:31]
	v_mul_f64 v[6:7], v[6:7], v[28:29]
	s_mulk_i32 s0, 0x230
	v_mov_b32_e32 v38, s1
	v_fma_f64 v[12:13], v[16:17], v[12:13], v[36:37]
	v_fma_f64 v[14:15], v[16:17], v[14:15], -v[18:19]
	ds_read_b128 v[16:19], v126 offset:2240
	v_add_co_u32_e32 v34, vcc, s0, v34
	v_addc_co_u32_e32 v35, vcc, v35, v38, vcc
	global_store_dwordx4 v[34:35], v[24:27], off
	v_mul_f64 v[12:13], v[12:13], s[2:3]
	v_mul_f64 v[14:15], v[14:15], s[2:3]
	v_fma_f64 v[24:25], v[4:5], v[28:29], v[32:33]
	v_fma_f64 v[26:27], v[4:5], v[30:31], -v[6:7]
	ds_read_b128 v[4:7], v126 offset:2800
	s_waitcnt lgkmcnt(1)
	v_mul_f64 v[28:29], v[22:23], v[18:19]
	v_mul_f64 v[22:23], v[22:23], v[16:17]
	v_mov_b32_e32 v36, s1
	v_add_co_u32_e32 v30, vcc, s0, v34
	v_addc_co_u32_e32 v31, vcc, v35, v36, vcc
	global_store_dwordx4 v[30:31], v[12:15], off
	s_nop 0
	v_mul_f64 v[12:13], v[24:25], s[2:3]
	v_fma_f64 v[24:25], v[20:21], v[16:17], v[28:29]
	v_fma_f64 v[20:21], v[20:21], v[18:19], -v[22:23]
	ds_read_b128 v[16:19], v126 offset:3360
	v_mul_f64 v[14:15], v[26:27], s[2:3]
	v_mov_b32_e32 v26, s1
	v_add_co_u32_e32 v22, vcc, s0, v30
	v_addc_co_u32_e32 v23, vcc, v31, v26, vcc
	s_waitcnt lgkmcnt(1)
	v_mul_f64 v[26:27], v[2:3], v[6:7]
	v_mul_f64 v[2:3], v[2:3], v[4:5]
	s_waitcnt lgkmcnt(0)
	v_mul_f64 v[28:29], v[10:11], v[18:19]
	v_mul_f64 v[30:31], v[10:11], v[16:17]
	global_store_dwordx4 v[22:23], v[12:15], off
	v_mul_f64 v[10:11], v[24:25], s[2:3]
	v_mul_f64 v[12:13], v[20:21], s[2:3]
	v_mov_b32_e32 v15, s1
	v_fma_f64 v[4:5], v[0:1], v[4:5], v[26:27]
	v_fma_f64 v[2:3], v[0:1], v[6:7], -v[2:3]
	v_fma_f64 v[6:7], v[8:9], v[16:17], v[28:29]
	v_fma_f64 v[8:9], v[8:9], v[18:19], -v[30:31]
	v_add_co_u32_e32 v14, vcc, s0, v22
	v_addc_co_u32_e32 v15, vcc, v23, v15, vcc
	v_mul_f64 v[0:1], v[4:5], s[2:3]
	v_mul_f64 v[2:3], v[2:3], s[2:3]
	v_mul_f64 v[4:5], v[6:7], s[2:3]
	v_mul_f64 v[6:7], v[8:9], s[2:3]
	global_store_dwordx4 v[14:15], v[10:13], off
	v_add_co_u32_e32 v8, vcc, s0, v14
	v_mov_b32_e32 v10, s1
	v_addc_co_u32_e32 v9, vcc, v15, v10, vcc
	global_store_dwordx4 v[8:9], v[0:3], off
	s_nop 0
	v_mov_b32_e32 v1, s1
	v_add_co_u32_e32 v0, vcc, s0, v8
	v_addc_co_u32_e32 v1, vcc, v9, v1, vcc
	global_store_dwordx4 v[0:1], v[4:7], off
.LBB0_10:
	s_endpgm
	.section	.rodata,"a",@progbits
	.p2align	6, 0x0
	.amdhsa_kernel bluestein_single_fwd_len245_dim1_dp_op_CI_CI
		.amdhsa_group_segment_fixed_size 27440
		.amdhsa_private_segment_fixed_size 0
		.amdhsa_kernarg_size 104
		.amdhsa_user_sgpr_count 6
		.amdhsa_user_sgpr_private_segment_buffer 1
		.amdhsa_user_sgpr_dispatch_ptr 0
		.amdhsa_user_sgpr_queue_ptr 0
		.amdhsa_user_sgpr_kernarg_segment_ptr 1
		.amdhsa_user_sgpr_dispatch_id 0
		.amdhsa_user_sgpr_flat_scratch_init 0
		.amdhsa_user_sgpr_private_segment_size 0
		.amdhsa_uses_dynamic_stack 0
		.amdhsa_system_sgpr_private_segment_wavefront_offset 0
		.amdhsa_system_sgpr_workgroup_id_x 1
		.amdhsa_system_sgpr_workgroup_id_y 0
		.amdhsa_system_sgpr_workgroup_id_z 0
		.amdhsa_system_sgpr_workgroup_info 0
		.amdhsa_system_vgpr_workitem_id 0
		.amdhsa_next_free_vgpr 179
		.amdhsa_next_free_sgpr 30
		.amdhsa_reserve_vcc 1
		.amdhsa_reserve_flat_scratch 0
		.amdhsa_float_round_mode_32 0
		.amdhsa_float_round_mode_16_64 0
		.amdhsa_float_denorm_mode_32 3
		.amdhsa_float_denorm_mode_16_64 3
		.amdhsa_dx10_clamp 1
		.amdhsa_ieee_mode 1
		.amdhsa_fp16_overflow 0
		.amdhsa_exception_fp_ieee_invalid_op 0
		.amdhsa_exception_fp_denorm_src 0
		.amdhsa_exception_fp_ieee_div_zero 0
		.amdhsa_exception_fp_ieee_overflow 0
		.amdhsa_exception_fp_ieee_underflow 0
		.amdhsa_exception_fp_ieee_inexact 0
		.amdhsa_exception_int_div_zero 0
	.end_amdhsa_kernel
	.text
.Lfunc_end0:
	.size	bluestein_single_fwd_len245_dim1_dp_op_CI_CI, .Lfunc_end0-bluestein_single_fwd_len245_dim1_dp_op_CI_CI
                                        ; -- End function
	.section	.AMDGPU.csdata,"",@progbits
; Kernel info:
; codeLenInByte = 9080
; NumSgprs: 34
; NumVgprs: 179
; ScratchSize: 0
; MemoryBound: 0
; FloatMode: 240
; IeeeMode: 1
; LDSByteSize: 27440 bytes/workgroup (compile time only)
; SGPRBlocks: 4
; VGPRBlocks: 44
; NumSGPRsForWavesPerEU: 34
; NumVGPRsForWavesPerEU: 179
; Occupancy: 1
; WaveLimiterHint : 1
; COMPUTE_PGM_RSRC2:SCRATCH_EN: 0
; COMPUTE_PGM_RSRC2:USER_SGPR: 6
; COMPUTE_PGM_RSRC2:TRAP_HANDLER: 0
; COMPUTE_PGM_RSRC2:TGID_X_EN: 1
; COMPUTE_PGM_RSRC2:TGID_Y_EN: 0
; COMPUTE_PGM_RSRC2:TGID_Z_EN: 0
; COMPUTE_PGM_RSRC2:TIDIG_COMP_CNT: 0
	.type	__hip_cuid_8da19242288a3666,@object ; @__hip_cuid_8da19242288a3666
	.section	.bss,"aw",@nobits
	.globl	__hip_cuid_8da19242288a3666
__hip_cuid_8da19242288a3666:
	.byte	0                               ; 0x0
	.size	__hip_cuid_8da19242288a3666, 1

	.ident	"AMD clang version 19.0.0git (https://github.com/RadeonOpenCompute/llvm-project roc-6.4.0 25133 c7fe45cf4b819c5991fe208aaa96edf142730f1d)"
	.section	".note.GNU-stack","",@progbits
	.addrsig
	.addrsig_sym __hip_cuid_8da19242288a3666
	.amdgpu_metadata
---
amdhsa.kernels:
  - .args:
      - .actual_access:  read_only
        .address_space:  global
        .offset:         0
        .size:           8
        .value_kind:     global_buffer
      - .actual_access:  read_only
        .address_space:  global
        .offset:         8
        .size:           8
        .value_kind:     global_buffer
      - .actual_access:  read_only
        .address_space:  global
        .offset:         16
        .size:           8
        .value_kind:     global_buffer
      - .actual_access:  read_only
        .address_space:  global
        .offset:         24
        .size:           8
        .value_kind:     global_buffer
      - .actual_access:  read_only
        .address_space:  global
        .offset:         32
        .size:           8
        .value_kind:     global_buffer
      - .offset:         40
        .size:           8
        .value_kind:     by_value
      - .address_space:  global
        .offset:         48
        .size:           8
        .value_kind:     global_buffer
      - .address_space:  global
        .offset:         56
        .size:           8
        .value_kind:     global_buffer
      - .address_space:  global
        .offset:         64
        .size:           8
        .value_kind:     global_buffer
      - .address_space:  global
        .offset:         72
        .size:           8
        .value_kind:     global_buffer
      - .offset:         80
        .size:           4
        .value_kind:     by_value
      - .address_space:  global
        .offset:         88
        .size:           8
        .value_kind:     global_buffer
      - .address_space:  global
        .offset:         96
        .size:           8
        .value_kind:     global_buffer
    .group_segment_fixed_size: 27440
    .kernarg_segment_align: 8
    .kernarg_segment_size: 104
    .language:       OpenCL C
    .language_version:
      - 2
      - 0
    .max_flat_workgroup_size: 245
    .name:           bluestein_single_fwd_len245_dim1_dp_op_CI_CI
    .private_segment_fixed_size: 0
    .sgpr_count:     34
    .sgpr_spill_count: 0
    .symbol:         bluestein_single_fwd_len245_dim1_dp_op_CI_CI.kd
    .uniform_work_group_size: 1
    .uses_dynamic_stack: false
    .vgpr_count:     179
    .vgpr_spill_count: 0
    .wavefront_size: 64
amdhsa.target:   amdgcn-amd-amdhsa--gfx906
amdhsa.version:
  - 1
  - 2
...

	.end_amdgpu_metadata
